;; amdgpu-corpus repo=ROCm/rocFFT kind=compiled arch=gfx1201 opt=O3
	.text
	.amdgcn_target "amdgcn-amd-amdhsa--gfx1201"
	.amdhsa_code_object_version 6
	.protected	fft_rtc_back_len416_factors_13_2_16_wgs_64_tpt_32_dp_op_CI_CI_unitstride_sbrr_dirReg ; -- Begin function fft_rtc_back_len416_factors_13_2_16_wgs_64_tpt_32_dp_op_CI_CI_unitstride_sbrr_dirReg
	.globl	fft_rtc_back_len416_factors_13_2_16_wgs_64_tpt_32_dp_op_CI_CI_unitstride_sbrr_dirReg
	.p2align	8
	.type	fft_rtc_back_len416_factors_13_2_16_wgs_64_tpt_32_dp_op_CI_CI_unitstride_sbrr_dirReg,@function
fft_rtc_back_len416_factors_13_2_16_wgs_64_tpt_32_dp_op_CI_CI_unitstride_sbrr_dirReg: ; @fft_rtc_back_len416_factors_13_2_16_wgs_64_tpt_32_dp_op_CI_CI_unitstride_sbrr_dirReg
; %bb.0:
	s_clause 0x2
	s_load_b128 s[8:11], s[0:1], 0x0
	s_load_b128 s[4:7], s[0:1], 0x58
	;; [unrolled: 1-line block ×3, first 2 shown]
	v_lshrrev_b32_e32 v1, 5, v0
	v_mov_b32_e32 v3, 0
	s_delay_alu instid0(VALU_DEP_2) | instskip(SKIP_2) | instid1(VALU_DEP_4)
	v_lshl_or_b32 v5, ttmp9, 1, v1
	v_mov_b32_e32 v1, 0
	v_mov_b32_e32 v2, 0
	;; [unrolled: 1-line block ×3, first 2 shown]
	s_wait_kmcnt 0x0
	v_cmp_lt_u64_e64 s2, s[10:11], 2
	s_delay_alu instid0(VALU_DEP_1)
	s_and_b32 vcc_lo, exec_lo, s2
	s_cbranch_vccnz .LBB0_8
; %bb.1:
	s_load_b64 s[2:3], s[0:1], 0x10
	v_mov_b32_e32 v1, 0
	v_mov_b32_e32 v2, 0
	s_add_nc_u64 s[16:17], s[14:15], 8
	s_add_nc_u64 s[18:19], s[12:13], 8
	s_mov_b64 s[20:21], 1
	s_delay_alu instid0(VALU_DEP_1)
	v_dual_mov_b32 v65, v2 :: v_dual_mov_b32 v64, v1
	s_wait_kmcnt 0x0
	s_add_nc_u64 s[22:23], s[2:3], 8
	s_mov_b32 s3, 0
.LBB0_2:                                ; =>This Inner Loop Header: Depth=1
	s_load_b64 s[24:25], s[22:23], 0x0
                                        ; implicit-def: $vgpr66_vgpr67
	s_mov_b32 s2, exec_lo
	s_wait_kmcnt 0x0
	v_or_b32_e32 v4, s25, v6
	s_delay_alu instid0(VALU_DEP_1)
	v_cmpx_ne_u64_e32 0, v[3:4]
	s_wait_alu 0xfffe
	s_xor_b32 s26, exec_lo, s2
	s_cbranch_execz .LBB0_4
; %bb.3:                                ;   in Loop: Header=BB0_2 Depth=1
	s_cvt_f32_u32 s2, s24
	s_cvt_f32_u32 s27, s25
	s_sub_nc_u64 s[30:31], 0, s[24:25]
	s_wait_alu 0xfffe
	s_delay_alu instid0(SALU_CYCLE_1) | instskip(SKIP_1) | instid1(SALU_CYCLE_2)
	s_fmamk_f32 s2, s27, 0x4f800000, s2
	s_wait_alu 0xfffe
	v_s_rcp_f32 s2, s2
	s_delay_alu instid0(TRANS32_DEP_1) | instskip(SKIP_1) | instid1(SALU_CYCLE_2)
	s_mul_f32 s2, s2, 0x5f7ffffc
	s_wait_alu 0xfffe
	s_mul_f32 s27, s2, 0x2f800000
	s_wait_alu 0xfffe
	s_delay_alu instid0(SALU_CYCLE_2) | instskip(SKIP_1) | instid1(SALU_CYCLE_2)
	s_trunc_f32 s27, s27
	s_wait_alu 0xfffe
	s_fmamk_f32 s2, s27, 0xcf800000, s2
	s_cvt_u32_f32 s29, s27
	s_wait_alu 0xfffe
	s_delay_alu instid0(SALU_CYCLE_1) | instskip(SKIP_1) | instid1(SALU_CYCLE_2)
	s_cvt_u32_f32 s28, s2
	s_wait_alu 0xfffe
	s_mul_u64 s[34:35], s[30:31], s[28:29]
	s_wait_alu 0xfffe
	s_mul_hi_u32 s37, s28, s35
	s_mul_i32 s36, s28, s35
	s_mul_hi_u32 s2, s28, s34
	s_mul_i32 s33, s29, s34
	s_wait_alu 0xfffe
	s_add_nc_u64 s[36:37], s[2:3], s[36:37]
	s_mul_hi_u32 s27, s29, s34
	s_mul_hi_u32 s38, s29, s35
	s_add_co_u32 s2, s36, s33
	s_wait_alu 0xfffe
	s_add_co_ci_u32 s2, s37, s27
	s_mul_i32 s34, s29, s35
	s_add_co_ci_u32 s35, s38, 0
	s_wait_alu 0xfffe
	s_add_nc_u64 s[34:35], s[2:3], s[34:35]
	s_wait_alu 0xfffe
	v_add_co_u32 v4, s2, s28, s34
	s_delay_alu instid0(VALU_DEP_1) | instskip(SKIP_1) | instid1(VALU_DEP_1)
	s_cmp_lg_u32 s2, 0
	s_add_co_ci_u32 s29, s29, s35
	v_readfirstlane_b32 s28, v4
	s_wait_alu 0xfffe
	s_delay_alu instid0(VALU_DEP_1)
	s_mul_u64 s[30:31], s[30:31], s[28:29]
	s_wait_alu 0xfffe
	s_mul_hi_u32 s35, s28, s31
	s_mul_i32 s34, s28, s31
	s_mul_hi_u32 s2, s28, s30
	s_mul_i32 s33, s29, s30
	s_wait_alu 0xfffe
	s_add_nc_u64 s[34:35], s[2:3], s[34:35]
	s_mul_hi_u32 s27, s29, s30
	s_mul_hi_u32 s28, s29, s31
	s_wait_alu 0xfffe
	s_add_co_u32 s2, s34, s33
	s_add_co_ci_u32 s2, s35, s27
	s_mul_i32 s30, s29, s31
	s_add_co_ci_u32 s31, s28, 0
	s_wait_alu 0xfffe
	s_add_nc_u64 s[30:31], s[2:3], s[30:31]
	s_wait_alu 0xfffe
	v_add_co_u32 v4, s2, v4, s30
	s_delay_alu instid0(VALU_DEP_1) | instskip(SKIP_1) | instid1(VALU_DEP_1)
	s_cmp_lg_u32 s2, 0
	s_add_co_ci_u32 s2, s29, s31
	v_mul_hi_u32 v13, v5, v4
	s_wait_alu 0xfffe
	v_mad_co_u64_u32 v[7:8], null, v5, s2, 0
	v_mad_co_u64_u32 v[9:10], null, v6, v4, 0
	;; [unrolled: 1-line block ×3, first 2 shown]
	s_delay_alu instid0(VALU_DEP_3) | instskip(SKIP_1) | instid1(VALU_DEP_4)
	v_add_co_u32 v4, vcc_lo, v13, v7
	s_wait_alu 0xfffd
	v_add_co_ci_u32_e32 v7, vcc_lo, 0, v8, vcc_lo
	s_delay_alu instid0(VALU_DEP_2) | instskip(SKIP_1) | instid1(VALU_DEP_2)
	v_add_co_u32 v4, vcc_lo, v4, v9
	s_wait_alu 0xfffd
	v_add_co_ci_u32_e32 v4, vcc_lo, v7, v10, vcc_lo
	s_wait_alu 0xfffd
	v_add_co_ci_u32_e32 v7, vcc_lo, 0, v12, vcc_lo
	s_delay_alu instid0(VALU_DEP_2) | instskip(SKIP_1) | instid1(VALU_DEP_2)
	v_add_co_u32 v4, vcc_lo, v4, v11
	s_wait_alu 0xfffd
	v_add_co_ci_u32_e32 v9, vcc_lo, 0, v7, vcc_lo
	s_delay_alu instid0(VALU_DEP_2) | instskip(SKIP_1) | instid1(VALU_DEP_3)
	v_mul_lo_u32 v10, s25, v4
	v_mad_co_u64_u32 v[7:8], null, s24, v4, 0
	v_mul_lo_u32 v11, s24, v9
	s_delay_alu instid0(VALU_DEP_2) | instskip(NEXT) | instid1(VALU_DEP_2)
	v_sub_co_u32 v7, vcc_lo, v5, v7
	v_add3_u32 v8, v8, v11, v10
	s_delay_alu instid0(VALU_DEP_1) | instskip(SKIP_1) | instid1(VALU_DEP_1)
	v_sub_nc_u32_e32 v10, v6, v8
	s_wait_alu 0xfffd
	v_subrev_co_ci_u32_e64 v10, s2, s25, v10, vcc_lo
	v_add_co_u32 v11, s2, v4, 2
	s_wait_alu 0xf1ff
	v_add_co_ci_u32_e64 v12, s2, 0, v9, s2
	v_sub_co_u32 v13, s2, v7, s24
	v_sub_co_ci_u32_e32 v8, vcc_lo, v6, v8, vcc_lo
	s_wait_alu 0xf1ff
	v_subrev_co_ci_u32_e64 v10, s2, 0, v10, s2
	s_delay_alu instid0(VALU_DEP_3) | instskip(NEXT) | instid1(VALU_DEP_3)
	v_cmp_le_u32_e32 vcc_lo, s24, v13
	v_cmp_eq_u32_e64 s2, s25, v8
	s_wait_alu 0xfffd
	v_cndmask_b32_e64 v13, 0, -1, vcc_lo
	v_cmp_le_u32_e32 vcc_lo, s25, v10
	s_wait_alu 0xfffd
	v_cndmask_b32_e64 v14, 0, -1, vcc_lo
	v_cmp_le_u32_e32 vcc_lo, s24, v7
	;; [unrolled: 3-line block ×3, first 2 shown]
	s_wait_alu 0xfffd
	v_cndmask_b32_e64 v15, 0, -1, vcc_lo
	v_cmp_eq_u32_e32 vcc_lo, s25, v10
	s_wait_alu 0xf1ff
	s_delay_alu instid0(VALU_DEP_2)
	v_cndmask_b32_e64 v7, v15, v7, s2
	s_wait_alu 0xfffd
	v_cndmask_b32_e32 v10, v14, v13, vcc_lo
	v_add_co_u32 v13, vcc_lo, v4, 1
	s_wait_alu 0xfffd
	v_add_co_ci_u32_e32 v14, vcc_lo, 0, v9, vcc_lo
	s_delay_alu instid0(VALU_DEP_3) | instskip(SKIP_1) | instid1(VALU_DEP_2)
	v_cmp_ne_u32_e32 vcc_lo, 0, v10
	s_wait_alu 0xfffd
	v_cndmask_b32_e32 v8, v14, v12, vcc_lo
	v_cndmask_b32_e32 v10, v13, v11, vcc_lo
	v_cmp_ne_u32_e32 vcc_lo, 0, v7
	s_wait_alu 0xfffd
	s_delay_alu instid0(VALU_DEP_2)
	v_dual_cndmask_b32 v67, v9, v8 :: v_dual_cndmask_b32 v66, v4, v10
.LBB0_4:                                ;   in Loop: Header=BB0_2 Depth=1
	s_wait_alu 0xfffe
	s_and_not1_saveexec_b32 s2, s26
	s_cbranch_execz .LBB0_6
; %bb.5:                                ;   in Loop: Header=BB0_2 Depth=1
	v_cvt_f32_u32_e32 v4, s24
	s_sub_co_i32 s26, 0, s24
	v_mov_b32_e32 v67, v3
	s_delay_alu instid0(VALU_DEP_2) | instskip(NEXT) | instid1(TRANS32_DEP_1)
	v_rcp_iflag_f32_e32 v4, v4
	v_mul_f32_e32 v4, 0x4f7ffffe, v4
	s_delay_alu instid0(VALU_DEP_1) | instskip(SKIP_1) | instid1(VALU_DEP_1)
	v_cvt_u32_f32_e32 v4, v4
	s_wait_alu 0xfffe
	v_mul_lo_u32 v7, s26, v4
	s_delay_alu instid0(VALU_DEP_1) | instskip(NEXT) | instid1(VALU_DEP_1)
	v_mul_hi_u32 v7, v4, v7
	v_add_nc_u32_e32 v4, v4, v7
	s_delay_alu instid0(VALU_DEP_1) | instskip(NEXT) | instid1(VALU_DEP_1)
	v_mul_hi_u32 v4, v5, v4
	v_mul_lo_u32 v7, v4, s24
	v_add_nc_u32_e32 v8, 1, v4
	s_delay_alu instid0(VALU_DEP_2) | instskip(NEXT) | instid1(VALU_DEP_1)
	v_sub_nc_u32_e32 v7, v5, v7
	v_subrev_nc_u32_e32 v9, s24, v7
	v_cmp_le_u32_e32 vcc_lo, s24, v7
	s_wait_alu 0xfffd
	s_delay_alu instid0(VALU_DEP_2) | instskip(NEXT) | instid1(VALU_DEP_1)
	v_dual_cndmask_b32 v7, v7, v9 :: v_dual_cndmask_b32 v4, v4, v8
	v_cmp_le_u32_e32 vcc_lo, s24, v7
	s_delay_alu instid0(VALU_DEP_2) | instskip(SKIP_1) | instid1(VALU_DEP_1)
	v_add_nc_u32_e32 v8, 1, v4
	s_wait_alu 0xfffd
	v_cndmask_b32_e32 v66, v4, v8, vcc_lo
.LBB0_6:                                ;   in Loop: Header=BB0_2 Depth=1
	s_wait_alu 0xfffe
	s_or_b32 exec_lo, exec_lo, s2
	v_mul_lo_u32 v4, v67, s24
	s_delay_alu instid0(VALU_DEP_2)
	v_mul_lo_u32 v9, v66, s25
	s_load_b64 s[26:27], s[18:19], 0x0
	v_mad_co_u64_u32 v[7:8], null, v66, s24, 0
	s_load_b64 s[24:25], s[16:17], 0x0
	s_add_nc_u64 s[20:21], s[20:21], 1
	s_add_nc_u64 s[16:17], s[16:17], 8
	s_wait_alu 0xfffe
	v_cmp_ge_u64_e64 s2, s[20:21], s[10:11]
	s_add_nc_u64 s[18:19], s[18:19], 8
	s_add_nc_u64 s[22:23], s[22:23], 8
	v_add3_u32 v4, v8, v9, v4
	v_sub_co_u32 v5, vcc_lo, v5, v7
	s_wait_alu 0xfffd
	s_delay_alu instid0(VALU_DEP_2) | instskip(SKIP_2) | instid1(VALU_DEP_1)
	v_sub_co_ci_u32_e32 v4, vcc_lo, v6, v4, vcc_lo
	s_and_b32 vcc_lo, exec_lo, s2
	s_wait_kmcnt 0x0
	v_mul_lo_u32 v6, s26, v4
	v_mul_lo_u32 v7, s27, v5
	v_mad_co_u64_u32 v[1:2], null, s26, v5, v[1:2]
	v_mul_lo_u32 v4, s24, v4
	v_mul_lo_u32 v8, s25, v5
	v_mad_co_u64_u32 v[64:65], null, s24, v5, v[64:65]
	s_delay_alu instid0(VALU_DEP_4) | instskip(NEXT) | instid1(VALU_DEP_2)
	v_add3_u32 v2, v7, v2, v6
	v_add3_u32 v65, v8, v65, v4
	s_wait_alu 0xfffe
	s_cbranch_vccnz .LBB0_9
; %bb.7:                                ;   in Loop: Header=BB0_2 Depth=1
	v_dual_mov_b32 v5, v66 :: v_dual_mov_b32 v6, v67
	s_branch .LBB0_2
.LBB0_8:
	v_dual_mov_b32 v65, v2 :: v_dual_mov_b32 v64, v1
	v_dual_mov_b32 v67, v6 :: v_dual_mov_b32 v66, v5
.LBB0_9:
	s_load_b64 s[0:1], s[0:1], 0x28
	v_and_b32_e32 v68, 31, v0
	s_lshl_b64 s[10:11], s[10:11], 3
                                        ; implicit-def: $vgpr103
                                        ; implicit-def: $vgpr99
                                        ; implicit-def: $vgpr63
                                        ; implicit-def: $vgpr100
                                        ; implicit-def: $vgpr101
                                        ; implicit-def: $vgpr102
	s_wait_kmcnt 0x0
	v_cmp_gt_u64_e32 vcc_lo, s[0:1], v[66:67]
	v_cmp_le_u64_e64 s0, s[0:1], v[66:67]
	s_delay_alu instid0(VALU_DEP_1)
	s_and_saveexec_b32 s1, s0
	s_wait_alu 0xfffe
	s_xor_b32 s0, exec_lo, s1
; %bb.10:
	v_and_b32_e32 v68, 31, v0
                                        ; implicit-def: $vgpr1_vgpr2
	s_delay_alu instid0(VALU_DEP_1)
	v_or_b32_e32 v103, 32, v68
	v_or_b32_e32 v99, 64, v68
	v_or_b32_e32 v63, 0x60, v68
	v_or_b32_e32 v100, 0x80, v68
	v_or_b32_e32 v101, 0xa0, v68
	v_or_b32_e32 v102, 0xc0, v68
; %bb.11:
	s_wait_alu 0xfffe
	s_or_saveexec_b32 s1, s0
	s_add_nc_u64 s[2:3], s[14:15], s[10:11]
                                        ; implicit-def: $vgpr51_vgpr52
                                        ; implicit-def: $vgpr47_vgpr48
                                        ; implicit-def: $vgpr43_vgpr44
                                        ; implicit-def: $vgpr39_vgpr40
                                        ; implicit-def: $vgpr35_vgpr36
                                        ; implicit-def: $vgpr27_vgpr28
                                        ; implicit-def: $vgpr23_vgpr24
                                        ; implicit-def: $vgpr11_vgpr12
                                        ; implicit-def: $vgpr7_vgpr8
                                        ; implicit-def: $vgpr3_vgpr4
                                        ; implicit-def: $vgpr15_vgpr16
                                        ; implicit-def: $vgpr31_vgpr32
                                        ; implicit-def: $vgpr19_vgpr20
	s_wait_alu 0xfffe
	s_xor_b32 exec_lo, exec_lo, s1
	s_cbranch_execz .LBB0_13
; %bb.12:
	s_add_nc_u64 s[10:11], s[12:13], s[10:11]
	v_lshlrev_b64_e32 v[1:2], 4, v[1:2]
	s_load_b64 s[10:11], s[10:11], 0x0
	v_or_b32_e32 v103, 32, v68
	v_or_b32_e32 v99, 64, v68
	;; [unrolled: 1-line block ×6, first 2 shown]
	s_wait_kmcnt 0x0
	v_mul_lo_u32 v5, s11, v66
	v_mul_lo_u32 v6, s10, v67
	v_mad_co_u64_u32 v[3:4], null, s10, v66, 0
	s_delay_alu instid0(VALU_DEP_1) | instskip(SKIP_1) | instid1(VALU_DEP_2)
	v_add3_u32 v4, v4, v6, v5
	v_lshlrev_b32_e32 v5, 4, v68
	v_lshlrev_b64_e32 v[3:4], 4, v[3:4]
	s_delay_alu instid0(VALU_DEP_1) | instskip(SKIP_1) | instid1(VALU_DEP_2)
	v_add_co_u32 v3, s0, s4, v3
	s_wait_alu 0xf1ff
	v_add_co_ci_u32_e64 v4, s0, s5, v4, s0
	s_delay_alu instid0(VALU_DEP_2) | instskip(SKIP_1) | instid1(VALU_DEP_2)
	v_add_co_u32 v1, s0, v3, v1
	s_wait_alu 0xf1ff
	v_add_co_ci_u32_e64 v2, s0, v4, v2, s0
	s_delay_alu instid0(VALU_DEP_2) | instskip(SKIP_1) | instid1(VALU_DEP_2)
	v_add_co_u32 v1, s0, v1, v5
	s_wait_alu 0xf1ff
	v_add_co_ci_u32_e64 v2, s0, 0, v2, s0
	s_clause 0xc
	global_load_b128 v[17:20], v[1:2], off
	global_load_b128 v[49:52], v[1:2], off offset:512
	global_load_b128 v[45:48], v[1:2], off offset:1024
	;; [unrolled: 1-line block ×12, first 2 shown]
.LBB0_13:
	s_or_b32 exec_lo, exec_lo, s1
	s_wait_loadcnt 0xb
	v_add_f64_e32 v[53:54], v[49:50], v[17:18]
	v_add_f64_e32 v[55:56], v[51:52], v[19:20]
	s_wait_loadcnt 0x2
	v_add_f64_e64 v[97:98], v[43:44], -v[11:12]
	v_add_f64_e64 v[95:96], v[41:42], -v[9:10]
	v_add_f64_e32 v[73:74], v[41:42], v[9:10]
	v_add_f64_e32 v[71:72], v[43:44], v[11:12]
	v_add_f64_e64 v[61:62], v[37:38], -v[13:14]
	v_add_f64_e64 v[69:70], v[39:40], -v[15:16]
	s_wait_loadcnt 0x0
	v_add_f64_e64 v[81:82], v[51:52], -v[3:4]
	v_add_f64_e64 v[79:80], v[49:50], -v[1:2]
	v_add_f64_e32 v[59:60], v[45:46], v[5:6]
	v_add_f64_e64 v[83:84], v[45:46], -v[5:6]
	v_add_f64_e64 v[75:76], v[33:34], -v[21:22]
	;; [unrolled: 1-line block ×3, first 2 shown]
	s_mov_b32 s26, 0x42a4c3d2
	s_mov_b32 s27, 0xbfea55e2
	;; [unrolled: 1-line block ×12, first 2 shown]
	v_add_f64_e32 v[51:52], v[51:52], v[3:4]
	v_add_f64_e64 v[85:86], v[47:48], -v[7:8]
	v_add_f64_e64 v[87:88], v[29:30], -v[25:26]
	;; [unrolled: 1-line block ×3, first 2 shown]
	s_mov_b32 s4, 0x1ea71119
	s_mov_b32 s0, 0xe00740e9
	;; [unrolled: 1-line block ×8, first 2 shown]
	v_add_f64_e32 v[57:58], v[45:46], v[53:54]
	v_add_f64_e32 v[55:56], v[47:48], v[55:56]
	;; [unrolled: 1-line block ×5, first 2 shown]
	s_mov_b32 s11, 0x3fbedb7d
	s_mov_b32 s13, 0xbfd6b1d8
	;; [unrolled: 1-line block ×3, first 2 shown]
	s_wait_alu 0xfffe
	v_mul_f64_e32 v[104:105], s[28:29], v[81:82]
	v_mul_f64_e32 v[112:113], s[26:27], v[79:80]
	v_mul_f64_e32 v[106:107], s[20:21], v[81:82]
	v_mul_f64_e32 v[108:109], s[22:23], v[81:82]
	v_mul_f64_e32 v[110:111], s[18:19], v[79:80]
	v_mul_f64_e32 v[114:115], s[28:29], v[79:80]
	v_mul_f64_e32 v[116:117], s[20:21], v[79:80]
	v_mul_f64_e32 v[118:119], s[22:23], v[79:80]
	v_mul_f64_e32 v[79:80], s[24:25], v[79:80]
	s_mov_b32 s17, 0xbfef11f4
	s_mov_b32 s35, 0x3fe5384d
	;; [unrolled: 1-line block ×3, first 2 shown]
	v_mul_f64_e32 v[130:131], s[20:21], v[83:84]
	s_mov_b32 s31, 0x3fefc445
	s_mov_b32 s30, s28
	v_mul_f64_e32 v[122:123], s[26:27], v[83:84]
	v_mul_f64_e32 v[138:139], s[24:25], v[83:84]
	s_wait_alu 0xfffe
	v_mul_f64_e32 v[146:147], s[34:35], v[83:84]
	v_mul_f64_e32 v[150:151], s[30:31], v[83:84]
	;; [unrolled: 1-line block ×8, first 2 shown]
	s_mov_b32 s37, 0x3fedeba7
	s_mov_b32 s36, s20
	v_mul_f64_e32 v[132:133], s[24:25], v[97:98]
	v_mul_f64_e32 v[134:135], s[24:25], v[95:96]
	;; [unrolled: 1-line block ×3, first 2 shown]
	v_add_f64_e32 v[91:92], v[41:42], v[57:58]
	v_add_f64_e32 v[93:94], v[43:44], v[55:56]
	;; [unrolled: 1-line block ×7, first 2 shown]
	v_mul_f64_e32 v[126:127], s[28:29], v[95:96]
	v_fma_f64 v[198:199], v[53:54], s[10:11], v[104:105]
	v_fma_f64 v[104:105], v[53:54], s[10:11], -v[104:105]
	v_fma_f64 v[200:201], v[53:54], s[12:13], v[106:107]
	v_fma_f64 v[106:107], v[53:54], s[12:13], -v[106:107]
	;; [unrolled: 2-line block ×3, first 2 shown]
	v_fma_f64 v[204:205], v[51:52], s[0:1], -v[110:111]
	v_fma_f64 v[208:209], v[51:52], s[14:15], -v[118:119]
	;; [unrolled: 1-line block ×3, first 2 shown]
	v_fma_f64 v[110:111], v[51:52], s[0:1], v[110:111]
	v_fma_f64 v[118:119], v[51:52], s[14:15], v[118:119]
	v_mul_f64_e32 v[140:141], s[36:37], v[97:98]
	v_mul_f64_e32 v[142:143], s[36:37], v[95:96]
	;; [unrolled: 1-line block ×5, first 2 shown]
	s_mov_b32 s41, 0x3fcea1e5
	s_mov_b32 s39, 0x3fea55e2
	;; [unrolled: 1-line block ×3, first 2 shown]
	v_fma_f64 v[216:217], v[59:60], s[12:13], v[128:129]
	v_fma_f64 v[128:129], v[59:60], s[12:13], -v[128:129]
	v_fma_f64 v[222:223], v[59:60], s[16:17], v[136:137]
	v_fma_f64 v[228:229], v[59:60], s[14:15], v[144:145]
	v_fma_f64 v[136:137], v[59:60], s[16:17], -v[136:137]
	v_fma_f64 v[144:145], v[59:60], s[14:15], -v[144:145]
	v_fma_f64 v[232:233], v[59:60], s[10:11], v[148:149]
	v_fma_f64 v[148:149], v[59:60], s[10:11], -v[148:149]
	s_mov_b32 s38, s26
	v_mul_f64_e32 v[168:169], s[34:35], v[61:62]
	v_fma_f64 v[220:221], v[73:74], s[16:17], v[132:133]
	v_add_f64_e32 v[37:38], v[37:38], v[91:92]
	v_add_f64_e32 v[39:40], v[39:40], v[93:94]
	v_mul_f64_e32 v[93:94], s[26:27], v[81:82]
	v_mul_f64_e32 v[91:92], s[18:19], v[81:82]
	;; [unrolled: 1-line block ×3, first 2 shown]
	s_mov_b32 s19, 0x3fddbe06
	v_fma_f64 v[218:219], v[57:58], s[12:13], -v[130:131]
	s_wait_alu 0xfffe
	v_mul_f64_e32 v[85:86], s[18:19], v[85:86]
	v_mul_f64_e32 v[83:84], s[18:19], v[83:84]
	v_fma_f64 v[212:213], v[57:58], s[4:5], -v[122:123]
	v_fma_f64 v[224:225], v[57:58], s[16:17], -v[138:139]
	v_add_f64_e32 v[198:199], v[198:199], v[17:18]
	v_mul_f64_e32 v[97:98], s[18:19], v[97:98]
	v_mul_f64_e32 v[95:96], s[18:19], v[95:96]
	v_add_f64_e32 v[204:205], v[204:205], v[19:20]
	v_fma_f64 v[230:231], v[57:58], s[14:15], -v[146:147]
	v_add_f64_e32 v[200:201], v[200:201], v[17:18]
	v_fma_f64 v[130:131], v[57:58], s[12:13], v[130:131]
	v_fma_f64 v[234:235], v[57:58], s[10:11], -v[150:151]
	v_add_f64_e32 v[104:105], v[104:105], v[17:18]
	v_add_f64_e32 v[106:107], v[106:107], v[17:18]
	;; [unrolled: 1-line block ×5, first 2 shown]
	v_fma_f64 v[138:139], v[57:58], s[16:17], v[138:139]
	v_fma_f64 v[146:147], v[57:58], s[14:15], v[146:147]
	v_add_f64_e32 v[210:211], v[210:211], v[19:20]
	v_fma_f64 v[122:123], v[57:58], s[4:5], v[122:123]
	v_fma_f64 v[150:151], v[57:58], s[10:11], v[150:151]
	v_add_f64_e32 v[110:111], v[110:111], v[19:20]
	v_add_f64_e32 v[118:119], v[118:119], v[19:20]
	v_fma_f64 v[238:239], v[71:72], s[16:17], -v[134:135]
	v_mul_f64_e32 v[160:161], s[20:21], v[69:70]
	v_mul_f64_e32 v[162:163], s[40:41], v[69:70]
	;; [unrolled: 1-line block ×6, first 2 shown]
	v_add_f64_e32 v[33:34], v[33:34], v[37:38]
	v_add_f64_e32 v[35:36], v[35:36], v[39:40]
	v_fma_f64 v[196:197], v[53:54], s[4:5], v[93:94]
	v_fma_f64 v[194:195], v[53:54], s[0:1], v[91:92]
	v_fma_f64 v[91:92], v[53:54], s[0:1], -v[91:92]
	v_fma_f64 v[93:94], v[53:54], s[4:5], -v[93:94]
	v_fma_f64 v[206:207], v[53:54], s[16:17], v[81:82]
	v_fma_f64 v[53:54], v[53:54], s[16:17], -v[81:82]
	v_fma_f64 v[81:82], v[51:52], s[10:11], -v[114:115]
	v_mul_f64_e32 v[37:38], s[34:35], v[69:70]
	v_mul_f64_e32 v[39:40], s[28:29], v[69:70]
	;; [unrolled: 1-line block ×3, first 2 shown]
	v_fma_f64 v[214:215], v[73:74], s[10:11], v[124:125]
	v_fma_f64 v[226:227], v[73:74], s[12:13], v[140:141]
	v_fma_f64 v[236:237], v[71:72], s[10:11], -v[126:127]
	v_add_f64_e32 v[204:205], v[212:213], v[204:205]
	v_add_f64_e32 v[198:199], v[222:223], v[198:199]
	v_mul_f64_e32 v[69:70], s[18:19], v[69:70]
	v_mul_f64_e32 v[61:62], s[18:19], v[61:62]
	v_fma_f64 v[124:125], v[73:74], s[10:11], -v[124:125]
	v_fma_f64 v[132:133], v[73:74], s[16:17], -v[132:133]
	;; [unrolled: 1-line block ×3, first 2 shown]
	v_add_f64_e32 v[200:201], v[228:229], v[200:201]
	v_fma_f64 v[134:135], v[71:72], s[16:17], v[134:135]
	v_add_f64_e32 v[104:105], v[136:137], v[104:105]
	v_add_f64_e32 v[106:107], v[144:145], v[106:107]
	;; [unrolled: 1-line block ×5, first 2 shown]
	v_fma_f64 v[126:127], v[71:72], s[10:11], v[126:127]
	v_add_f64_e32 v[118:119], v[150:151], v[118:119]
	v_add_f64_e32 v[110:111], v[122:123], v[110:111]
	v_mul_f64_e32 v[178:179], s[30:31], v[77:78]
	v_mul_f64_e32 v[184:185], s[20:21], v[77:78]
	;; [unrolled: 1-line block ×3, first 2 shown]
	v_fma_f64 v[232:233], v[43:44], s[14:15], -v[168:169]
	v_mul_f64_e32 v[180:181], s[26:27], v[77:78]
	v_mul_f64_e32 v[192:193], s[26:27], v[75:76]
	v_add_f64_e32 v[29:30], v[29:30], v[33:34]
	v_add_f64_e32 v[31:32], v[31:32], v[35:36]
	v_fma_f64 v[33:34], v[51:52], s[4:5], -v[112:113]
	v_fma_f64 v[35:36], v[51:52], s[4:5], v[112:113]
	v_fma_f64 v[112:113], v[51:52], s[10:11], v[114:115]
	v_fma_f64 v[114:115], v[51:52], s[12:13], -v[116:117]
	v_fma_f64 v[116:117], v[51:52], s[12:13], v[116:117]
	v_fma_f64 v[51:52], v[51:52], s[16:17], v[79:80]
	v_add_f64_e32 v[196:197], v[196:197], v[17:18]
	v_fma_f64 v[79:80], v[59:60], s[4:5], v[120:121]
	v_add_f64_e32 v[194:195], v[194:195], v[17:18]
	v_add_f64_e32 v[81:82], v[81:82], v[19:20]
	v_fma_f64 v[120:121], v[59:60], s[4:5], -v[120:121]
	v_add_f64_e32 v[91:92], v[91:92], v[17:18]
	v_add_f64_e32 v[93:94], v[93:94], v[17:18]
	;; [unrolled: 1-line block ×4, first 2 shown]
	v_fma_f64 v[53:54], v[71:72], s[12:13], v[142:143]
	v_add_f64_e32 v[204:205], v[236:237], v[204:205]
	v_fma_f64 v[236:237], v[43:44], s[0:1], -v[61:62]
	v_add_f64_e32 v[198:199], v[226:227], v[198:199]
	v_mul_f64_e32 v[182:183], s[40:41], v[77:78]
	v_mul_f64_e32 v[186:187], s[22:23], v[75:76]
	v_fma_f64 v[136:137], v[41:42], s[10:11], v[39:40]
	v_fma_f64 v[234:235], v[43:44], s[10:11], -v[170:171]
	v_mul_f64_e32 v[176:177], s[22:23], v[77:78]
	v_mul_f64_e32 v[77:78], s[18:19], v[77:78]
	v_fma_f64 v[39:40], v[41:42], s[10:11], -v[39:40]
	v_fma_f64 v[144:145], v[41:42], s[4:5], v[164:165]
	v_fma_f64 v[164:165], v[41:42], s[4:5], -v[164:165]
	v_fma_f64 v[168:169], v[43:44], s[14:15], v[168:169]
	v_fma_f64 v[170:171], v[43:44], s[10:11], v[170:171]
	v_fma_f64 v[148:149], v[43:44], s[16:17], -v[172:173]
	v_fma_f64 v[172:173], v[43:44], s[16:17], v[172:173]
	v_fma_f64 v[150:151], v[43:44], s[4:5], -v[174:175]
	v_fma_f64 v[174:175], v[43:44], s[4:5], v[174:175]
	v_mul_f64_e32 v[188:189], s[24:25], v[89:90]
	v_mul_f64_e32 v[212:213], s[22:23], v[89:90]
	v_add_f64_e32 v[25:26], v[25:26], v[29:30]
	v_add_f64_e32 v[27:28], v[27:28], v[31:32]
	;; [unrolled: 1-line block ×9, first 2 shown]
	v_fma_f64 v[51:52], v[71:72], s[12:13], -v[142:143]
	v_add_f64_e32 v[79:80], v[79:80], v[194:195]
	v_add_f64_e32 v[81:82], v[224:225], v[81:82]
	v_fma_f64 v[29:30], v[73:74], s[4:5], v[152:153]
	v_fma_f64 v[31:32], v[73:74], s[4:5], -v[152:153]
	v_fma_f64 v[152:153], v[73:74], s[14:15], v[154:155]
	v_fma_f64 v[154:155], v[73:74], s[14:15], -v[154:155]
	v_fma_f64 v[142:143], v[71:72], s[4:5], -v[156:157]
	v_add_f64_e32 v[91:92], v[120:121], v[91:92]
	v_add_f64_e32 v[93:94], v[128:129], v[93:94]
	v_fma_f64 v[156:157], v[71:72], s[4:5], v[156:157]
	v_mul_f64_e32 v[194:195], s[40:41], v[75:76]
	v_fma_f64 v[128:129], v[41:42], s[12:13], v[160:161]
	v_fma_f64 v[160:161], v[41:42], s[12:13], -v[160:161]
	v_mul_f64_e32 v[216:217], s[22:23], v[87:88]
	v_mul_f64_e32 v[222:223], s[38:39], v[89:90]
	;; [unrolled: 1-line block ×6, first 2 shown]
	v_and_b32_e32 v0, 32, v0
	s_load_b64 s[2:3], s[2:3], 0x0
	v_add_f64_e32 v[21:22], v[21:22], v[25:26]
	v_add_f64_e32 v[23:24], v[23:24], v[27:28]
	v_fma_f64 v[25:26], v[71:72], s[14:15], -v[158:159]
	v_fma_f64 v[27:28], v[71:72], s[14:15], v[158:159]
	v_fma_f64 v[158:159], v[59:60], s[0:1], v[85:86]
	v_fma_f64 v[59:60], v[59:60], s[0:1], -v[85:86]
	v_fma_f64 v[85:86], v[57:58], s[0:1], -v[83:84]
	v_fma_f64 v[57:58], v[57:58], s[0:1], v[83:84]
	v_add_f64_e32 v[33:34], v[218:219], v[33:34]
	v_fma_f64 v[83:84], v[73:74], s[0:1], v[97:98]
	v_fma_f64 v[73:74], v[73:74], s[0:1], -v[97:98]
	v_fma_f64 v[97:98], v[71:72], s[0:1], -v[95:96]
	v_add_f64_e32 v[114:115], v[230:231], v[114:115]
	v_add_f64_e32 v[35:36], v[130:131], v[35:36]
	v_fma_f64 v[71:72], v[71:72], s[0:1], v[95:96]
	v_add_f64_e32 v[112:113], v[138:139], v[112:113]
	v_add_f64_e32 v[116:117], v[146:147], v[116:117]
	v_fma_f64 v[130:131], v[41:42], s[14:15], v[37:38]
	;; [unrolled: 3-line block ×3, first 2 shown]
	v_add_f64_e32 v[51:52], v[51:52], v[81:82]
	v_fma_f64 v[146:147], v[43:44], s[12:13], -v[166:167]
	v_mul_f64_e32 v[218:219], s[20:21], v[75:76]
	v_mul_f64_e32 v[75:76], s[18:19], v[75:76]
	v_fma_f64 v[37:38], v[41:42], s[14:15], -v[37:38]
	v_fma_f64 v[138:139], v[41:42], s[16:17], v[162:163]
	v_fma_f64 v[162:163], v[41:42], s[16:17], -v[162:163]
	v_fma_f64 v[166:167], v[43:44], s[12:13], v[166:167]
	v_fma_f64 v[41:42], v[41:42], s[0:1], -v[69:70]
	v_fma_f64 v[43:44], v[43:44], s[0:1], v[61:62]
	v_add_f64_e32 v[61:62], v[124:125], v[91:92]
	v_add_f64_e32 v[69:70], v[132:133], v[93:94]
	;; [unrolled: 1-line block ×9, first 2 shown]
	v_mul_f64_e32 v[95:96], s[24:25], v[87:88]
	v_mul_f64_e32 v[230:231], s[30:31], v[89:90]
	v_add_f64_e32 v[158:159], v[158:159], v[206:207]
	v_add_f64_e32 v[17:18], v[59:60], v[17:18]
	;; [unrolled: 1-line block ×7, first 2 shown]
	v_mul_f64_e32 v[89:90], s[18:19], v[89:90]
	v_add_f64_e32 v[23:24], v[97:98], v[114:115]
	v_add_f64_e32 v[35:36], v[134:135], v[35:36]
	v_mul_f64_e32 v[87:88], s[18:19], v[87:88]
	v_add_f64_e32 v[53:54], v[53:54], v[112:113]
	v_add_f64_e32 v[71:72], v[71:72], v[116:117]
	v_fma_f64 v[210:211], v[49:50], s[10:11], v[178:179]
	v_fma_f64 v[81:82], v[49:50], s[12:13], v[184:185]
	v_fma_f64 v[83:84], v[49:50], s[12:13], -v[184:185]
	v_fma_f64 v[184:185], v[45:46], s[10:11], -v[190:191]
	v_add_f64_e32 v[112:113], v[130:131], v[196:197]
	v_fma_f64 v[59:60], v[49:50], s[4:5], v[180:181]
	v_fma_f64 v[200:201], v[45:46], s[4:5], -v[192:193]
	v_add_f64_e32 v[116:117], v[214:215], v[198:199]
	v_add_f64_e32 v[51:52], v[236:237], v[51:52]
	v_fma_f64 v[57:58], v[49:50], s[16:17], v[182:183]
	v_fma_f64 v[97:98], v[45:46], s[14:15], -v[186:187]
	v_fma_f64 v[226:227], v[45:46], s[16:17], -v[194:195]
	v_fma_f64 v[206:207], v[49:50], s[14:15], v[176:177]
	v_fma_f64 v[176:177], v[49:50], s[14:15], -v[176:177]
	v_fma_f64 v[178:179], v[49:50], s[10:11], -v[178:179]
	v_fma_f64 v[180:181], v[49:50], s[4:5], -v[180:181]
	v_fma_f64 v[182:183], v[49:50], s[16:17], -v[182:183]
	v_fma_f64 v[130:131], v[49:50], s[0:1], v[77:78]
	v_fma_f64 v[49:50], v[49:50], s[0:1], -v[77:78]
	v_fma_f64 v[132:133], v[45:46], s[0:1], -v[75:76]
	v_add_f64_e32 v[37:38], v[37:38], v[69:70]
	v_add_f64_e32 v[9:10], v[9:10], v[13:14]
	;; [unrolled: 1-line block ×14, first 2 shown]
	v_fma_f64 v[23:24], v[45:46], s[10:11], v[190:191]
	v_add_f64_e32 v[35:36], v[168:169], v[35:36]
	v_add_f64_e32 v[39:40], v[39:40], v[73:74]
	;; [unrolled: 1-line block ×4, first 2 shown]
	v_fma_f64 v[126:127], v[45:46], s[12:13], -v[218:219]
	v_add_f64_e32 v[43:44], v[43:44], v[53:54]
	v_add_f64_e32 v[53:54], v[170:171], v[71:72]
	;; [unrolled: 1-line block ×3, first 2 shown]
	v_fma_f64 v[118:119], v[45:46], s[4:5], v[192:193]
	v_fma_f64 v[128:129], v[45:46], s[12:13], v[218:219]
	;; [unrolled: 1-line block ×5, first 2 shown]
	v_add_f64_e32 v[75:76], v[172:173], v[108:109]
	v_add_f64_e32 v[61:62], v[160:161], v[61:62]
	v_fma_f64 v[77:78], v[55:56], s[0:1], v[89:90]
	v_fma_f64 v[73:74], v[47:48], s[0:1], -v[87:88]
	v_add_f64_e32 v[93:94], v[210:211], v[112:113]
	v_fma_f64 v[85:86], v[55:56], s[14:15], v[212:213]
	v_fma_f64 v[106:107], v[47:48], s[14:15], -v[216:217]
	v_add_f64_e32 v[59:60], v[59:60], v[116:117]
	v_add_f64_e32 v[51:52], v[200:201], v[51:52]
	v_fma_f64 v[108:109], v[47:48], s[4:5], -v[224:225]
	v_fma_f64 v[134:135], v[55:56], s[12:13], v[228:229]
	v_fma_f64 v[112:113], v[55:56], s[14:15], -v[212:213]
	v_fma_f64 v[138:139], v[55:56], s[10:11], v[230:231]
	v_fma_f64 v[114:115], v[55:56], s[16:17], v[188:189]
	v_add_f64_e32 v[29:30], v[130:131], v[29:30]
	v_add_f64_e32 v[71:72], v[144:145], v[104:105]
	;; [unrolled: 1-line block ×10, first 2 shown]
	v_fma_f64 v[104:105], v[55:56], s[4:5], v[222:223]
	v_add_f64_e32 v[23:24], v[23:24], v[35:36]
	v_add_f64_e32 v[35:36], v[180:181], v[41:42]
	;; [unrolled: 1-line block ×5, first 2 shown]
	v_fma_f64 v[31:32], v[47:48], s[12:13], -v[122:123]
	v_fma_f64 v[110:111], v[55:56], s[16:17], -v[188:189]
	;; [unrolled: 1-line block ×6, first 2 shown]
	v_add_f64_e32 v[37:38], v[178:179], v[37:38]
	v_add_f64_e32 v[89:90], v[118:119], v[43:44]
	v_fma_f64 v[220:221], v[47:48], s[16:17], -v[95:96]
	v_add_f64_e32 v[79:80], v[206:207], v[79:80]
	v_add_f64_e32 v[5:6], v[5:6], v[9:10]
	;; [unrolled: 1-line block ×4, first 2 shown]
	v_fma_f64 v[122:123], v[47:48], s[12:13], v[122:123]
	v_add_f64_e32 v[43:44], v[124:125], v[53:54]
	v_fma_f64 v[124:125], v[47:48], s[4:5], v[224:225]
	v_fma_f64 v[87:88], v[47:48], s[0:1], v[87:88]
	v_add_f64_e32 v[61:62], v[176:177], v[61:62]
	v_fma_f64 v[95:96], v[47:48], s[16:17], v[95:96]
	v_add_f64_e32 v[9:10], v[77:78], v[93:94]
	v_add_f64_e32 v[13:14], v[85:86], v[59:60]
	v_add_f64_e32 v[15:16], v[106:107], v[51:52]
	v_add_f64_e32 v[29:30], v[134:135], v[29:30]
	v_add_f64_e32 v[69:70], v[81:82], v[71:72]
	v_add_f64_e32 v[81:82], v[83:84], v[17:18]
	v_add_f64_e32 v[71:72], v[126:127], v[25:26]
	v_fma_f64 v[83:84], v[47:48], s[10:11], -v[120:121]
	v_add_f64_e32 v[118:119], v[128:129], v[19:20]
	v_fma_f64 v[120:121], v[47:48], s[10:11], v[120:121]
	v_fma_f64 v[126:127], v[47:48], s[14:15], v[216:217]
	v_add_f64_e32 v[128:129], v[21:22], v[27:28]
	v_add_f64_e32 v[11:12], v[73:74], v[33:34]
	;; [unrolled: 1-line block ×5, first 2 shown]
	v_cmp_ne_u32_e64 s0, 0, v0
	v_add_f64_e32 v[31:32], v[31:32], v[39:40]
	v_add_f64_e32 v[41:42], v[116:117], v[41:42]
	;; [unrolled: 1-line block ×3, first 2 shown]
	s_wait_alu 0xf1ff
	v_cndmask_b32_e64 v49, 0, 0x1a0, s0
	v_cmp_gt_u32_e64 s0, 16, v68
	v_add_f64_e32 v[21:22], v[55:56], v[37:38]
	s_delay_alu instid0(VALU_DEP_3)
	v_lshl_add_u32 v50, v49, 4, 0
	v_add_f64_e32 v[1:2], v[1:2], v[5:6]
	v_add_f64_e32 v[3:4], v[3:4], v[7:8]
	;; [unrolled: 1-line block ×8, first 2 shown]
	v_mad_u32_u24 v0, 0xd0, v68, v50
	v_lshl_add_u32 v56, v68, 4, v50
	v_lshlrev_b32_e32 v57, 4, v49
	v_add_f64_e32 v[33:34], v[138:139], v[69:70]
	v_add_f64_e32 v[37:38], v[140:141], v[81:82]
	v_mad_i32_i24 v60, 0xffffff40, v68, v0
	v_add_f64_e32 v[35:36], v[83:84], v[71:72]
	v_add_f64_e32 v[39:40], v[120:121], v[118:119]
	;; [unrolled: 1-line block ×4, first 2 shown]
	ds_store_b128 v0, v[9:12] offset:32
	ds_store_b128 v0, v[13:16] offset:48
	ds_store_b128 v0, v[17:20] offset:64
	ds_store_b128 v0, v[29:32] offset:80
	ds_store_b128 v0, v[33:36] offset:96
	ds_store_b128 v0, v[37:40] offset:112
	ds_store_b128 v0, v[5:8] offset:16
	ds_store_b128 v0, v[1:4]
	ds_store_b128 v0, v[45:48] offset:128
	ds_store_b128 v0, v[41:44] offset:144
	;; [unrolled: 1-line block ×5, first 2 shown]
	v_lshl_add_u32 v17, v99, 4, v50
	v_lshl_add_u32 v18, v63, 4, v50
	;; [unrolled: 1-line block ×5, first 2 shown]
	global_wb scope:SCOPE_SE
	s_wait_dscnt 0x0
	s_wait_kmcnt 0x0
	s_barrier_signal -1
	s_barrier_wait -1
	global_inv scope:SCOPE_SE
	ds_load_b128 v[0:3], v56
	ds_load_b128 v[4:7], v60 offset:3328
	ds_load_b128 v[12:15], v60 offset:3840
	;; [unrolled: 1-line block ×3, first 2 shown]
	ds_load_b128 v[24:27], v17
	ds_load_b128 v[32:35], v18
	ds_load_b128 v[28:31], v60 offset:4864
	ds_load_b128 v[20:23], v60 offset:5376
	ds_load_b128 v[36:39], v19
	ds_load_b128 v[44:47], v40
	;; [unrolled: 1-line block ×3, first 2 shown]
	ds_load_b128 v[40:43], v60 offset:5888
                                        ; implicit-def: $vgpr50_vgpr51
	s_and_saveexec_b32 s1, s0
	s_cbranch_execz .LBB0_15
; %bb.14:
	v_lshlrev_b32_e32 v48, 4, v102
	s_delay_alu instid0(VALU_DEP_1)
	v_add3_u32 v48, 0, v48, v57
	ds_load_b128 v[52:55], v48
	ds_load_b128 v[48:51], v60 offset:6400
.LBB0_15:
	s_wait_alu 0xfffe
	s_or_b32 exec_lo, exec_lo, s1
	v_and_b32_e32 v58, 0xff, v68
	v_and_b32_e32 v59, 0xff, v103
	;; [unrolled: 1-line block ×5, first 2 shown]
	v_mul_lo_u16 v58, 0x4f, v58
	v_mul_lo_u16 v59, 0x4f, v59
	v_and_b32_e32 v70, 0xff, v101
	v_and_b32_e32 v71, 0xff, v102
	s_delay_alu instid0(VALU_DEP_4) | instskip(NEXT) | instid1(VALU_DEP_4)
	v_lshrrev_b16 v109, 10, v58
	v_lshrrev_b16 v110, 10, v59
	v_mul_lo_u16 v58, 0x4f, v61
	v_mul_lo_u16 v59, 0x4f, v62
	;; [unrolled: 1-line block ×5, first 2 shown]
	v_lshrrev_b16 v111, 10, v58
	v_mul_lo_u16 v70, 0x4f, v70
	v_mul_lo_u16 v71, 0x4f, v71
	v_sub_nc_u16 v58, v68, v62
	v_sub_nc_u16 v62, v103, v69
	v_lshrrev_b16 v112, 10, v59
	v_lshrrev_b16 v113, 10, v61
	;; [unrolled: 1-line block ×3, first 2 shown]
	v_and_b32_e32 v59, 0xff, v58
	v_and_b32_e32 v61, 0xff, v62
	v_lshrrev_b16 v58, 10, v71
	v_mul_lo_u16 v62, v111, 13
	v_mul_lo_u16 v77, v112, 13
	v_lshlrev_b32_e32 v115, 4, v59
	v_mul_lo_u16 v59, v113, 13
	v_lshlrev_b32_e32 v116, 4, v61
	v_mul_lo_u16 v61, v114, 13
	v_sub_nc_u16 v62, v99, v62
	v_sub_nc_u16 v63, v63, v77
	v_mul_lo_u16 v77, v58, 13
	v_sub_nc_u16 v59, v100, v59
	v_sub_nc_u16 v61, v101, v61
	v_and_b32_e32 v62, 0xff, v62
	v_and_b32_e32 v63, 0xff, v63
	v_sub_nc_u16 v77, v102, v77
	v_and_b32_e32 v59, 0xff, v59
	v_and_b32_e32 v61, 0xff, v61
	v_lshlrev_b32_e32 v117, 4, v62
	v_lshlrev_b32_e32 v63, 4, v63
	v_and_b32_e32 v62, 0xff, v77
	v_lshlrev_b32_e32 v118, 4, v59
	v_lshlrev_b32_e32 v119, 4, v61
	s_clause 0x3
	global_load_b128 v[69:72], v115, s[8:9]
	global_load_b128 v[73:76], v116, s[8:9]
	;; [unrolled: 1-line block ×4, first 2 shown]
	v_lshlrev_b32_e32 v59, 4, v62
	s_clause 0x2
	global_load_b128 v[85:88], v118, s[8:9]
	global_load_b128 v[89:92], v119, s[8:9]
	;; [unrolled: 1-line block ×3, first 2 shown]
	global_wb scope:SCOPE_SE
	s_wait_loadcnt_dscnt 0x0
	s_barrier_signal -1
	s_barrier_wait -1
	global_inv scope:SCOPE_SE
	v_mul_f64_e32 v[61:62], v[6:7], v[71:72]
	v_mul_f64_e32 v[71:72], v[4:5], v[71:72]
	;; [unrolled: 1-line block ×14, first 2 shown]
	v_fma_f64 v[4:5], v[4:5], v[69:70], v[61:62]
	v_fma_f64 v[6:7], v[6:7], v[69:70], -v[71:72]
	v_fma_f64 v[12:13], v[12:13], v[73:74], v[97:98]
	v_fma_f64 v[14:15], v[14:15], v[73:74], -v[75:76]
	;; [unrolled: 2-line block ×7, first 2 shown]
	v_add_f64_e64 v[4:5], v[0:1], -v[4:5]
	v_add_f64_e64 v[6:7], v[2:3], -v[6:7]
	;; [unrolled: 1-line block ×14, first 2 shown]
	v_and_b32_e32 v61, 0xffff, v109
	v_and_b32_e32 v62, 0xffff, v110
	;; [unrolled: 1-line block ×6, first 2 shown]
	v_mad_u32_u24 v61, 0x1a0, v61, 0
	v_mad_u32_u24 v62, 0x1a0, v62, 0
	v_mad_u32_u24 v69, 0x1a0, v69, 0
	v_mad_u32_u24 v70, 0x1a0, v70, 0
	v_mad_u32_u24 v71, 0x1a0, v71, 0
	v_mad_u32_u24 v72, 0x1a0, v72, 0
	v_add3_u32 v61, v61, v115, v57
	v_add3_u32 v62, v62, v116, v57
	;; [unrolled: 1-line block ×6, first 2 shown]
	v_fma_f64 v[0:1], v[0:1], 2.0, -v[4:5]
	v_fma_f64 v[2:3], v[2:3], 2.0, -v[6:7]
	;; [unrolled: 1-line block ×14, first 2 shown]
	ds_store_b128 v61, v[0:3]
	ds_store_b128 v61, v[4:7] offset:208
	ds_store_b128 v62, v[16:19]
	ds_store_b128 v62, v[8:11] offset:208
	;; [unrolled: 2-line block ×6, first 2 shown]
	s_and_saveexec_b32 s1, s0
	s_cbranch_execz .LBB0_17
; %bb.16:
	v_and_b32_e32 v58, 0xffff, v58
	s_delay_alu instid0(VALU_DEP_1) | instskip(NEXT) | instid1(VALU_DEP_1)
	v_mad_u32_u24 v58, 0x1a0, v58, 0
	v_add3_u32 v57, v58, v59, v57
	ds_store_b128 v57, v[52:55]
	ds_store_b128 v57, v[48:51] offset:208
.LBB0_17:
	s_wait_alu 0xfffe
	s_or_b32 exec_lo, exec_lo, s1
	v_cmp_gt_u32_e64 s0, 26, v68
	global_wb scope:SCOPE_SE
	s_wait_dscnt 0x0
	s_barrier_signal -1
	s_barrier_wait -1
	global_inv scope:SCOPE_SE
                                        ; implicit-def: $vgpr58_vgpr59
                                        ; implicit-def: $vgpr62_vgpr63
	s_and_saveexec_b32 s1, s0
	s_cbranch_execz .LBB0_19
; %bb.18:
	ds_load_b128 v[0:3], v56
	ds_load_b128 v[4:7], v60 offset:416
	ds_load_b128 v[16:19], v60 offset:832
	;; [unrolled: 1-line block ×15, first 2 shown]
.LBB0_19:
	s_wait_alu 0xfffe
	s_or_b32 exec_lo, exec_lo, s1
	v_cmp_gt_u32_e64 s1, 26, v68
	s_delay_alu instid0(VALU_DEP_1)
	s_and_b32 s1, vcc_lo, s1
	s_wait_alu 0xfffe
	s_and_saveexec_b32 s4, s1
	s_cbranch_execz .LBB0_21
; %bb.20:
	v_subrev_nc_u32_e32 v69, 26, v68
	v_mov_b32_e32 v70, 0
	s_mov_b32 s5, 0xbfe6a09e
	s_mov_b32 s10, 0xa6aea964
	;; [unrolled: 1-line block ×3, first 2 shown]
	v_cndmask_b32_e64 v69, v69, v68, s0
	s_mov_b32 s0, 0x667f3bcd
	s_mov_b32 s1, 0x3fe6a09e
	s_wait_alu 0xfffe
	s_mov_b32 s4, s0
	s_mov_b32 s13, 0x3fd87de2
	v_mul_i32_i24_e32 v69, 15, v69
	s_mov_b32 s12, s10
	s_mov_b32 s15, 0xbfed906b
	v_lshlrev_b64_e32 v[64:65], 4, v[64:65]
	s_delay_alu instid0(VALU_DEP_2) | instskip(SKIP_1) | instid1(VALU_DEP_2)
	v_lshlrev_b64_e32 v[71:72], 4, v[69:70]
	v_mov_b32_e32 v69, v70
	v_add_co_u32 v127, vcc_lo, s8, v71
	s_wait_alu 0xfffd
	s_delay_alu instid0(VALU_DEP_3)
	v_add_co_ci_u32_e32 v128, vcc_lo, s9, v72, vcc_lo
	s_mov_b32 s8, 0xcf328d46
	s_mov_b32 s9, 0x3fed906b
	s_wait_alu 0xfffe
	s_mov_b32 s14, s8
	s_clause 0xe
	global_load_b128 v[71:74], v[127:128], off offset:224
	global_load_b128 v[75:78], v[127:128], off offset:352
	;; [unrolled: 1-line block ×15, first 2 shown]
	s_wait_loadcnt_dscnt 0xe0d
	v_mul_f64_e32 v[131:132], v[16:17], v[73:74]
	s_wait_loadcnt_dscnt 0xd05
	v_mul_f64_e32 v[133:134], v[44:45], v[77:78]
	s_wait_loadcnt 0xc
	v_mul_f64_e32 v[135:136], v[34:35], v[81:82]
	s_wait_loadcnt_dscnt 0xb01
	v_mul_f64_e32 v[137:138], v[58:59], v[85:86]
	s_wait_loadcnt 0xa
	v_mul_f64_e32 v[139:140], v[36:37], v[89:90]
	s_wait_loadcnt 0x9
	;; [unrolled: 2-line block ×3, first 2 shown]
	v_mul_f64_e32 v[143:144], v[54:55], v[97:98]
	v_mul_f64_e32 v[73:74], v[18:19], v[73:74]
	;; [unrolled: 1-line block ×5, first 2 shown]
	s_wait_loadcnt 0x7
	v_mul_f64_e32 v[145:146], v[4:5], v[101:102]
	s_wait_loadcnt 0x6
	v_mul_f64_e32 v[147:148], v[28:29], v[105:106]
	;; [unrolled: 2-line block ×7, first 2 shown]
	s_wait_loadcnt_dscnt 0x0
	v_mul_f64_e32 v[159:160], v[62:63], v[129:130]
	v_mul_f64_e32 v[117:118], v[10:11], v[117:118]
	;; [unrolled: 1-line block ×12, first 2 shown]
	v_fma_f64 v[18:19], v[18:19], v[71:72], -v[131:132]
	v_fma_f64 v[46:47], v[46:47], v[75:76], -v[133:134]
	v_fma_f64 v[32:33], v[32:33], v[79:80], v[135:136]
	v_fma_f64 v[56:57], v[56:57], v[83:84], v[137:138]
	v_fma_f64 v[38:39], v[38:39], v[87:88], -v[139:140]
	v_fma_f64 v[24:25], v[24:25], v[91:92], v[141:142]
	v_fma_f64 v[52:53], v[52:53], v[95:96], v[143:144]
	;; [unrolled: 1-line block ×4, first 2 shown]
	v_fma_f64 v[34:35], v[34:35], v[79:80], -v[81:82]
	v_fma_f64 v[58:59], v[58:59], v[83:84], -v[85:86]
	;; [unrolled: 1-line block ×4, first 2 shown]
	v_fma_f64 v[12:13], v[12:13], v[107:108], v[149:150]
	v_fma_f64 v[48:49], v[48:49], v[111:112], v[151:152]
	v_fma_f64 v[10:11], v[10:11], v[115:116], -v[153:154]
	v_fma_f64 v[42:43], v[42:43], v[119:120], -v[155:156]
	v_fma_f64 v[20:21], v[20:21], v[123:124], v[157:158]
	v_fma_f64 v[60:61], v[60:61], v[127:128], v[159:160]
	;; [unrolled: 1-line block ×4, first 2 shown]
	v_fma_f64 v[22:23], v[22:23], v[123:124], -v[125:126]
	v_fma_f64 v[62:63], v[62:63], v[127:128], -v[129:130]
	v_fma_f64 v[4:5], v[4:5], v[99:100], v[101:102]
	v_fma_f64 v[28:29], v[28:29], v[103:104], v[105:106]
	v_fma_f64 v[14:15], v[14:15], v[107:108], -v[109:110]
	v_fma_f64 v[50:51], v[50:51], v[111:112], -v[113:114]
	;; [unrolled: 1-line block ×4, first 2 shown]
	v_fma_f64 v[36:37], v[36:37], v[87:88], v[89:90]
	v_add_f64_e64 v[46:47], v[18:19], -v[46:47]
	v_add_f64_e64 v[56:57], v[32:33], -v[56:57]
	;; [unrolled: 1-line block ×16, first 2 shown]
	v_fma_f64 v[18:19], v[18:19], 2.0, -v[46:47]
	v_add_f64_e64 v[73:74], v[46:47], -v[56:57]
	v_fma_f64 v[2:3], v[2:3], 2.0, -v[38:39]
	v_fma_f64 v[32:33], v[32:33], 2.0, -v[56:57]
	v_add_f64_e64 v[71:72], v[38:39], -v[52:53]
	v_fma_f64 v[24:25], v[24:25], 2.0, -v[52:53]
	v_fma_f64 v[16:17], v[16:17], 2.0, -v[44:45]
	v_add_f64_e32 v[75:76], v[44:45], v[58:59]
	v_fma_f64 v[34:35], v[34:35], 2.0, -v[58:59]
	v_fma_f64 v[6:7], v[6:7], 2.0, -v[30:31]
	v_add_f64_e64 v[77:78], v[30:31], -v[48:49]
	v_fma_f64 v[12:13], v[12:13], 2.0, -v[48:49]
	v_fma_f64 v[10:11], v[10:11], 2.0, -v[42:43]
	v_add_f64_e64 v[79:80], v[42:43], -v[60:61]
	v_fma_f64 v[20:21], v[20:21], 2.0, -v[60:61]
	v_fma_f64 v[8:9], v[8:9], 2.0, -v[40:41]
	v_add_f64_e32 v[81:82], v[40:41], v[62:63]
	v_fma_f64 v[22:23], v[22:23], 2.0, -v[62:63]
	v_fma_f64 v[4:5], v[4:5], 2.0, -v[28:29]
	v_add_f64_e32 v[83:84], v[28:29], v[50:51]
	;; [unrolled: 3-line block ×3, first 2 shown]
	v_fma_f64 v[0:1], v[0:1], 2.0, -v[36:37]
	v_fma_f64 v[46:47], v[46:47], 2.0, -v[73:74]
	;; [unrolled: 1-line block ×3, first 2 shown]
	v_fma_f64 v[48:49], v[73:74], s[0:1], v[71:72]
	v_add_f64_e64 v[32:33], v[16:17], -v[32:33]
	v_fma_f64 v[44:45], v[44:45], 2.0, -v[75:76]
	v_add_f64_e64 v[34:35], v[18:19], -v[34:35]
	v_fma_f64 v[30:31], v[30:31], 2.0, -v[77:78]
	v_fma_f64 v[42:43], v[42:43], 2.0, -v[79:80]
	v_fma_f64 v[50:51], v[79:80], s[0:1], v[77:78]
	v_add_f64_e64 v[20:21], v[8:9], -v[20:21]
	v_fma_f64 v[40:41], v[40:41], 2.0, -v[81:82]
	v_add_f64_e64 v[22:23], v[10:11], -v[22:23]
	v_add_f64_e64 v[12:13], v[4:5], -v[12:13]
	v_fma_f64 v[28:29], v[28:29], 2.0, -v[83:84]
	v_fma_f64 v[52:53], v[81:82], s[0:1], v[83:84]
	v_add_f64_e64 v[26:27], v[2:3], -v[26:27]
	v_fma_f64 v[36:37], v[36:37], 2.0, -v[85:86]
	v_fma_f64 v[54:55], v[75:76], s[0:1], v[85:86]
	v_add_f64_e64 v[14:15], v[6:7], -v[14:15]
	v_add_f64_e64 v[24:25], v[0:1], -v[24:25]
	v_fma_f64 v[56:57], v[46:47], s[4:5], v[38:39]
	v_fma_f64 v[48:49], v[75:76], s[4:5], v[48:49]
	v_fma_f64 v[16:17], v[16:17], 2.0, -v[32:33]
	v_fma_f64 v[18:19], v[18:19], 2.0, -v[34:35]
	v_fma_f64 v[58:59], v[42:43], s[4:5], v[30:31]
	v_fma_f64 v[50:51], v[81:82], s[4:5], v[50:51]
	v_fma_f64 v[8:9], v[8:9], 2.0, -v[20:21]
	v_fma_f64 v[10:11], v[10:11], 2.0, -v[22:23]
	v_add_f64_e32 v[75:76], v[12:13], v[22:23]
	v_fma_f64 v[4:5], v[4:5], 2.0, -v[12:13]
	v_fma_f64 v[60:61], v[40:41], s[4:5], v[28:29]
	v_fma_f64 v[52:53], v[79:80], s[0:1], v[52:53]
	v_fma_f64 v[2:3], v[2:3], 2.0, -v[26:27]
	v_fma_f64 v[62:63], v[44:45], s[4:5], v[36:37]
	v_fma_f64 v[54:55], v[73:74], s[0:1], v[54:55]
	v_add_f64_e64 v[73:74], v[26:27], -v[32:33]
	v_add_f64_e64 v[20:21], v[14:15], -v[20:21]
	v_add_f64_e32 v[79:80], v[34:35], v[24:25]
	v_fma_f64 v[0:1], v[0:1], 2.0, -v[24:25]
	v_fma_f64 v[6:7], v[6:7], 2.0, -v[14:15]
	v_fma_f64 v[56:57], v[44:45], s[4:5], v[56:57]
	v_fma_f64 v[44:45], v[71:72], 2.0, -v[48:49]
	v_fma_f64 v[32:33], v[40:41], s[4:5], v[58:59]
	v_fma_f64 v[34:35], v[77:78], 2.0, -v[50:51]
	v_fma_f64 v[12:13], v[12:13], 2.0, -v[75:76]
	v_add_f64_e64 v[8:9], v[4:5], -v[8:9]
	v_fma_f64 v[22:23], v[42:43], s[0:1], v[60:61]
	v_add_f64_e64 v[40:41], v[2:3], -v[18:19]
	v_fma_f64 v[58:59], v[46:47], s[0:1], v[62:63]
	v_fma_f64 v[18:19], v[83:84], 2.0, -v[52:53]
	v_fma_f64 v[60:61], v[26:27], 2.0, -v[73:74]
	;; [unrolled: 1-line block ×5, first 2 shown]
	v_add_f64_e64 v[46:47], v[0:1], -v[16:17]
	v_add_f64_e64 v[14:15], v[6:7], -v[10:11]
	v_fma_f64 v[16:17], v[20:21], s[0:1], v[73:74]
	v_fma_f64 v[24:25], v[75:76], s[0:1], v[79:80]
	;; [unrolled: 1-line block ×3, first 2 shown]
	v_fma_f64 v[77:78], v[38:39], 2.0, -v[56:57]
	v_fma_f64 v[38:39], v[30:31], 2.0, -v[32:33]
	v_fma_f64 v[30:31], v[52:53], s[8:9], v[54:55]
	v_fma_f64 v[83:84], v[34:35], s[10:11], v[44:45]
	v_fma_f64 v[97:98], v[4:5], 2.0, -v[8:9]
	v_fma_f64 v[28:29], v[28:29], 2.0, -v[22:23]
	;; [unrolled: 1-line block ×4, first 2 shown]
	v_fma_f64 v[36:37], v[32:33], s[12:13], v[56:57]
	v_fma_f64 v[42:43], v[22:23], s[12:13], v[58:59]
	v_fma_f64 v[85:86], v[26:27], s[4:5], v[60:61]
	v_fma_f64 v[87:88], v[12:13], s[4:5], v[62:63]
	v_fma_f64 v[89:90], v[18:19], s[10:11], v[71:72]
	v_fma_f64 v[95:96], v[0:1], 2.0, -v[46:47]
	v_fma_f64 v[93:94], v[6:7], 2.0, -v[14:15]
	v_fma_f64 v[6:7], v[75:76], s[4:5], v[16:17]
	v_fma_f64 v[4:5], v[20:21], s[0:1], v[24:25]
	v_fma_f64 v[2:3], v[52:53], s[10:11], v[10:11]
	v_add_f64_e64 v[10:11], v[40:41], -v[8:9]
	v_add_f64_e32 v[8:9], v[46:47], v[14:15]
	s_wait_alu 0xfffe
	v_fma_f64 v[99:100], v[38:39], s[14:15], v[77:78]
	v_fma_f64 v[0:1], v[50:51], s[12:13], v[30:31]
	;; [unrolled: 1-line block ×9, first 2 shown]
	v_add_f64_e64 v[24:25], v[95:96], -v[97:98]
	v_add_f64_e64 v[26:27], v[91:92], -v[93:94]
	v_mul_lo_u32 v32, s3, v66
	v_mul_lo_u32 v33, s2, v67
	v_mad_co_u64_u32 v[66:67], null, s2, v66, 0
	v_fma_f64 v[36:37], v[79:80], 2.0, -v[4:5]
	v_fma_f64 v[34:35], v[48:49], 2.0, -v[2:3]
	;; [unrolled: 1-line block ×4, first 2 shown]
	v_add3_u32 v67, v67, v33, v32
	s_delay_alu instid0(VALU_DEP_1) | instskip(SKIP_3) | instid1(VALU_DEP_4)
	v_lshlrev_b64_e32 v[66:67], 4, v[66:67]
	v_fma_f64 v[30:31], v[28:29], s[10:11], v[99:100]
	v_fma_f64 v[32:33], v[54:55], 2.0, -v[0:1]
	v_fma_f64 v[46:47], v[44:45], 2.0, -v[14:15]
	v_add_co_u32 v70, vcc_lo, s6, v66
	v_fma_f64 v[28:29], v[38:39], s[12:13], v[101:102]
	v_fma_f64 v[38:39], v[73:74], 2.0, -v[6:7]
	v_fma_f64 v[54:55], v[56:57], 2.0, -v[22:23]
	;; [unrolled: 1-line block ×8, first 2 shown]
	s_wait_alu 0xfffd
	v_add_co_ci_u32_e32 v71, vcc_lo, s7, v67, vcc_lo
	v_lshlrev_b64_e32 v[66:67], 4, v[68:69]
	v_add_co_u32 v64, vcc_lo, v70, v64
	s_wait_alu 0xfffd
	s_delay_alu instid0(VALU_DEP_3) | instskip(NEXT) | instid1(VALU_DEP_2)
	v_add_co_ci_u32_e32 v65, vcc_lo, v71, v65, vcc_lo
	v_add_co_u32 v64, vcc_lo, v64, v66
	s_wait_alu 0xfffd
	s_delay_alu instid0(VALU_DEP_2)
	v_add_co_ci_u32_e32 v65, vcc_lo, v65, v67, vcc_lo
	v_fma_f64 v[62:63], v[77:78], 2.0, -v[30:31]
	v_fma_f64 v[60:61], v[81:82], 2.0, -v[28:29]
	s_clause 0xf
	global_store_b128 v[64:65], v[36:39], off offset:2496
	global_store_b128 v[64:65], v[32:35], off offset:2912
	;; [unrolled: 1-line block ×12, first 2 shown]
	global_store_b128 v[64:65], v[56:59], off
	global_store_b128 v[64:65], v[60:63], off offset:416
	global_store_b128 v[64:65], v[4:7], off offset:5824
	;; [unrolled: 1-line block ×3, first 2 shown]
.LBB0_21:
	s_nop 0
	s_sendmsg sendmsg(MSG_DEALLOC_VGPRS)
	s_endpgm
	.section	.rodata,"a",@progbits
	.p2align	6, 0x0
	.amdhsa_kernel fft_rtc_back_len416_factors_13_2_16_wgs_64_tpt_32_dp_op_CI_CI_unitstride_sbrr_dirReg
		.amdhsa_group_segment_fixed_size 0
		.amdhsa_private_segment_fixed_size 0
		.amdhsa_kernarg_size 104
		.amdhsa_user_sgpr_count 2
		.amdhsa_user_sgpr_dispatch_ptr 0
		.amdhsa_user_sgpr_queue_ptr 0
		.amdhsa_user_sgpr_kernarg_segment_ptr 1
		.amdhsa_user_sgpr_dispatch_id 0
		.amdhsa_user_sgpr_private_segment_size 0
		.amdhsa_wavefront_size32 1
		.amdhsa_uses_dynamic_stack 0
		.amdhsa_enable_private_segment 0
		.amdhsa_system_sgpr_workgroup_id_x 1
		.amdhsa_system_sgpr_workgroup_id_y 0
		.amdhsa_system_sgpr_workgroup_id_z 0
		.amdhsa_system_sgpr_workgroup_info 0
		.amdhsa_system_vgpr_workitem_id 0
		.amdhsa_next_free_vgpr 240
		.amdhsa_next_free_sgpr 42
		.amdhsa_reserve_vcc 1
		.amdhsa_float_round_mode_32 0
		.amdhsa_float_round_mode_16_64 0
		.amdhsa_float_denorm_mode_32 3
		.amdhsa_float_denorm_mode_16_64 3
		.amdhsa_fp16_overflow 0
		.amdhsa_workgroup_processor_mode 1
		.amdhsa_memory_ordered 1
		.amdhsa_forward_progress 0
		.amdhsa_round_robin_scheduling 0
		.amdhsa_exception_fp_ieee_invalid_op 0
		.amdhsa_exception_fp_denorm_src 0
		.amdhsa_exception_fp_ieee_div_zero 0
		.amdhsa_exception_fp_ieee_overflow 0
		.amdhsa_exception_fp_ieee_underflow 0
		.amdhsa_exception_fp_ieee_inexact 0
		.amdhsa_exception_int_div_zero 0
	.end_amdhsa_kernel
	.text
.Lfunc_end0:
	.size	fft_rtc_back_len416_factors_13_2_16_wgs_64_tpt_32_dp_op_CI_CI_unitstride_sbrr_dirReg, .Lfunc_end0-fft_rtc_back_len416_factors_13_2_16_wgs_64_tpt_32_dp_op_CI_CI_unitstride_sbrr_dirReg
                                        ; -- End function
	.section	.AMDGPU.csdata,"",@progbits
; Kernel info:
; codeLenInByte = 8328
; NumSgprs: 44
; NumVgprs: 240
; ScratchSize: 0
; MemoryBound: 1
; FloatMode: 240
; IeeeMode: 1
; LDSByteSize: 0 bytes/workgroup (compile time only)
; SGPRBlocks: 5
; VGPRBlocks: 29
; NumSGPRsForWavesPerEU: 44
; NumVGPRsForWavesPerEU: 240
; Occupancy: 6
; WaveLimiterHint : 1
; COMPUTE_PGM_RSRC2:SCRATCH_EN: 0
; COMPUTE_PGM_RSRC2:USER_SGPR: 2
; COMPUTE_PGM_RSRC2:TRAP_HANDLER: 0
; COMPUTE_PGM_RSRC2:TGID_X_EN: 1
; COMPUTE_PGM_RSRC2:TGID_Y_EN: 0
; COMPUTE_PGM_RSRC2:TGID_Z_EN: 0
; COMPUTE_PGM_RSRC2:TIDIG_COMP_CNT: 0
	.text
	.p2alignl 7, 3214868480
	.fill 96, 4, 3214868480
	.type	__hip_cuid_1d5f9c06d522e474,@object ; @__hip_cuid_1d5f9c06d522e474
	.section	.bss,"aw",@nobits
	.globl	__hip_cuid_1d5f9c06d522e474
__hip_cuid_1d5f9c06d522e474:
	.byte	0                               ; 0x0
	.size	__hip_cuid_1d5f9c06d522e474, 1

	.ident	"AMD clang version 19.0.0git (https://github.com/RadeonOpenCompute/llvm-project roc-6.4.0 25133 c7fe45cf4b819c5991fe208aaa96edf142730f1d)"
	.section	".note.GNU-stack","",@progbits
	.addrsig
	.addrsig_sym __hip_cuid_1d5f9c06d522e474
	.amdgpu_metadata
---
amdhsa.kernels:
  - .args:
      - .actual_access:  read_only
        .address_space:  global
        .offset:         0
        .size:           8
        .value_kind:     global_buffer
      - .offset:         8
        .size:           8
        .value_kind:     by_value
      - .actual_access:  read_only
        .address_space:  global
        .offset:         16
        .size:           8
        .value_kind:     global_buffer
      - .actual_access:  read_only
        .address_space:  global
        .offset:         24
        .size:           8
        .value_kind:     global_buffer
      - .actual_access:  read_only
        .address_space:  global
        .offset:         32
        .size:           8
        .value_kind:     global_buffer
      - .offset:         40
        .size:           8
        .value_kind:     by_value
      - .actual_access:  read_only
        .address_space:  global
        .offset:         48
        .size:           8
        .value_kind:     global_buffer
      - .actual_access:  read_only
        .address_space:  global
        .offset:         56
        .size:           8
        .value_kind:     global_buffer
      - .offset:         64
        .size:           4
        .value_kind:     by_value
      - .actual_access:  read_only
        .address_space:  global
        .offset:         72
        .size:           8
        .value_kind:     global_buffer
      - .actual_access:  read_only
        .address_space:  global
        .offset:         80
        .size:           8
        .value_kind:     global_buffer
      - .actual_access:  read_only
        .address_space:  global
        .offset:         88
        .size:           8
        .value_kind:     global_buffer
      - .actual_access:  write_only
        .address_space:  global
        .offset:         96
        .size:           8
        .value_kind:     global_buffer
    .group_segment_fixed_size: 0
    .kernarg_segment_align: 8
    .kernarg_segment_size: 104
    .language:       OpenCL C
    .language_version:
      - 2
      - 0
    .max_flat_workgroup_size: 64
    .name:           fft_rtc_back_len416_factors_13_2_16_wgs_64_tpt_32_dp_op_CI_CI_unitstride_sbrr_dirReg
    .private_segment_fixed_size: 0
    .sgpr_count:     44
    .sgpr_spill_count: 0
    .symbol:         fft_rtc_back_len416_factors_13_2_16_wgs_64_tpt_32_dp_op_CI_CI_unitstride_sbrr_dirReg.kd
    .uniform_work_group_size: 1
    .uses_dynamic_stack: false
    .vgpr_count:     240
    .vgpr_spill_count: 0
    .wavefront_size: 32
    .workgroup_processor_mode: 1
amdhsa.target:   amdgcn-amd-amdhsa--gfx1201
amdhsa.version:
  - 1
  - 2
...

	.end_amdgpu_metadata
